;; amdgpu-corpus repo=ROCm/rocFFT kind=compiled arch=gfx906 opt=O3
	.text
	.amdgcn_target "amdgcn-amd-amdhsa--gfx906"
	.amdhsa_code_object_version 6
	.protected	fft_rtc_back_len864_factors_3_6_16_3_wgs_54_tpt_54_halfLds_sp_op_CI_CI_unitstride_sbrr_dirReg ; -- Begin function fft_rtc_back_len864_factors_3_6_16_3_wgs_54_tpt_54_halfLds_sp_op_CI_CI_unitstride_sbrr_dirReg
	.globl	fft_rtc_back_len864_factors_3_6_16_3_wgs_54_tpt_54_halfLds_sp_op_CI_CI_unitstride_sbrr_dirReg
	.p2align	8
	.type	fft_rtc_back_len864_factors_3_6_16_3_wgs_54_tpt_54_halfLds_sp_op_CI_CI_unitstride_sbrr_dirReg,@function
fft_rtc_back_len864_factors_3_6_16_3_wgs_54_tpt_54_halfLds_sp_op_CI_CI_unitstride_sbrr_dirReg: ; @fft_rtc_back_len864_factors_3_6_16_3_wgs_54_tpt_54_halfLds_sp_op_CI_CI_unitstride_sbrr_dirReg
; %bb.0:
	s_load_dwordx4 s[12:15], s[4:5], 0x58
	s_load_dwordx4 s[8:11], s[4:5], 0x0
	;; [unrolled: 1-line block ×3, first 2 shown]
	v_mul_u32_u24_e32 v1, 0x4be, v0
	v_add_u32_sdwa v10, s6, v1 dst_sel:DWORD dst_unused:UNUSED_PAD src0_sel:DWORD src1_sel:WORD_1
	v_mov_b32_e32 v8, 0
	s_waitcnt lgkmcnt(0)
	v_cmp_lt_u64_e64 s[0:1], s[10:11], 2
	v_mov_b32_e32 v1, 0
	v_mov_b32_e32 v11, v8
	s_and_b64 vcc, exec, s[0:1]
	v_mov_b32_e32 v2, 0
	s_cbranch_vccnz .LBB0_8
; %bb.1:
	s_load_dwordx2 s[0:1], s[4:5], 0x10
	s_add_u32 s2, s18, 8
	s_addc_u32 s3, s19, 0
	s_add_u32 s6, s16, 8
	v_mov_b32_e32 v1, 0
	s_addc_u32 s7, s17, 0
	v_mov_b32_e32 v2, 0
	s_waitcnt lgkmcnt(0)
	s_add_u32 s20, s0, 8
	v_mov_b32_e32 v5, v2
	s_addc_u32 s21, s1, 0
	s_mov_b64 s[22:23], 1
	v_mov_b32_e32 v4, v1
.LBB0_2:                                ; =>This Inner Loop Header: Depth=1
	s_load_dwordx2 s[24:25], s[20:21], 0x0
                                        ; implicit-def: $vgpr6_vgpr7
	s_waitcnt lgkmcnt(0)
	v_or_b32_e32 v9, s25, v11
	v_cmp_ne_u64_e32 vcc, 0, v[8:9]
	s_and_saveexec_b64 s[0:1], vcc
	s_xor_b64 s[26:27], exec, s[0:1]
	s_cbranch_execz .LBB0_4
; %bb.3:                                ;   in Loop: Header=BB0_2 Depth=1
	v_cvt_f32_u32_e32 v3, s24
	v_cvt_f32_u32_e32 v6, s25
	s_sub_u32 s0, 0, s24
	s_subb_u32 s1, 0, s25
	v_mac_f32_e32 v3, 0x4f800000, v6
	v_rcp_f32_e32 v3, v3
	v_mul_f32_e32 v3, 0x5f7ffffc, v3
	v_mul_f32_e32 v6, 0x2f800000, v3
	v_trunc_f32_e32 v6, v6
	v_mac_f32_e32 v3, 0xcf800000, v6
	v_cvt_u32_f32_e32 v6, v6
	v_cvt_u32_f32_e32 v3, v3
	v_mul_lo_u32 v7, s0, v6
	v_mul_hi_u32 v9, s0, v3
	v_mul_lo_u32 v13, s1, v3
	v_mul_lo_u32 v12, s0, v3
	v_add_u32_e32 v7, v9, v7
	v_add_u32_e32 v7, v7, v13
	v_mul_hi_u32 v9, v3, v12
	v_mul_lo_u32 v13, v3, v7
	v_mul_hi_u32 v15, v3, v7
	v_mul_hi_u32 v14, v6, v12
	v_mul_lo_u32 v12, v6, v12
	v_mul_hi_u32 v16, v6, v7
	v_add_co_u32_e32 v9, vcc, v9, v13
	v_addc_co_u32_e32 v13, vcc, 0, v15, vcc
	v_mul_lo_u32 v7, v6, v7
	v_add_co_u32_e32 v9, vcc, v9, v12
	v_addc_co_u32_e32 v9, vcc, v13, v14, vcc
	v_addc_co_u32_e32 v12, vcc, 0, v16, vcc
	v_add_co_u32_e32 v7, vcc, v9, v7
	v_addc_co_u32_e32 v9, vcc, 0, v12, vcc
	v_add_co_u32_e32 v3, vcc, v3, v7
	v_addc_co_u32_e32 v6, vcc, v6, v9, vcc
	v_mul_lo_u32 v7, s0, v6
	v_mul_hi_u32 v9, s0, v3
	v_mul_lo_u32 v12, s1, v3
	v_mul_lo_u32 v13, s0, v3
	v_add_u32_e32 v7, v9, v7
	v_add_u32_e32 v7, v7, v12
	v_mul_lo_u32 v14, v3, v7
	v_mul_hi_u32 v15, v3, v13
	v_mul_hi_u32 v16, v3, v7
	v_mul_hi_u32 v12, v6, v13
	v_mul_lo_u32 v13, v6, v13
	v_mul_hi_u32 v9, v6, v7
	v_add_co_u32_e32 v14, vcc, v15, v14
	v_addc_co_u32_e32 v15, vcc, 0, v16, vcc
	v_mul_lo_u32 v7, v6, v7
	v_add_co_u32_e32 v13, vcc, v14, v13
	v_addc_co_u32_e32 v12, vcc, v15, v12, vcc
	v_addc_co_u32_e32 v9, vcc, 0, v9, vcc
	v_add_co_u32_e32 v7, vcc, v12, v7
	v_addc_co_u32_e32 v9, vcc, 0, v9, vcc
	v_add_co_u32_e32 v3, vcc, v3, v7
	v_addc_co_u32_e32 v9, vcc, v6, v9, vcc
	v_mad_u64_u32 v[6:7], s[0:1], v10, v9, 0
	v_mul_hi_u32 v12, v10, v3
	v_add_co_u32_e32 v14, vcc, v12, v6
	v_addc_co_u32_e32 v15, vcc, 0, v7, vcc
	v_mad_u64_u32 v[6:7], s[0:1], v11, v3, 0
	v_mad_u64_u32 v[12:13], s[0:1], v11, v9, 0
	v_add_co_u32_e32 v3, vcc, v14, v6
	v_addc_co_u32_e32 v3, vcc, v15, v7, vcc
	v_addc_co_u32_e32 v6, vcc, 0, v13, vcc
	v_add_co_u32_e32 v3, vcc, v3, v12
	v_addc_co_u32_e32 v9, vcc, 0, v6, vcc
	v_mul_lo_u32 v12, s25, v3
	v_mul_lo_u32 v13, s24, v9
	v_mad_u64_u32 v[6:7], s[0:1], s24, v3, 0
	v_add3_u32 v7, v7, v13, v12
	v_sub_u32_e32 v12, v11, v7
	v_mov_b32_e32 v13, s25
	v_sub_co_u32_e32 v6, vcc, v10, v6
	v_subb_co_u32_e64 v12, s[0:1], v12, v13, vcc
	v_subrev_co_u32_e64 v13, s[0:1], s24, v6
	v_subbrev_co_u32_e64 v12, s[0:1], 0, v12, s[0:1]
	v_cmp_le_u32_e64 s[0:1], s25, v12
	v_cndmask_b32_e64 v14, 0, -1, s[0:1]
	v_cmp_le_u32_e64 s[0:1], s24, v13
	v_cndmask_b32_e64 v13, 0, -1, s[0:1]
	v_cmp_eq_u32_e64 s[0:1], s25, v12
	v_cndmask_b32_e64 v12, v14, v13, s[0:1]
	v_add_co_u32_e64 v13, s[0:1], 2, v3
	v_addc_co_u32_e64 v14, s[0:1], 0, v9, s[0:1]
	v_add_co_u32_e64 v15, s[0:1], 1, v3
	v_addc_co_u32_e64 v16, s[0:1], 0, v9, s[0:1]
	v_subb_co_u32_e32 v7, vcc, v11, v7, vcc
	v_cmp_ne_u32_e64 s[0:1], 0, v12
	v_cmp_le_u32_e32 vcc, s25, v7
	v_cndmask_b32_e64 v12, v16, v14, s[0:1]
	v_cndmask_b32_e64 v14, 0, -1, vcc
	v_cmp_le_u32_e32 vcc, s24, v6
	v_cndmask_b32_e64 v6, 0, -1, vcc
	v_cmp_eq_u32_e32 vcc, s25, v7
	v_cndmask_b32_e32 v6, v14, v6, vcc
	v_cmp_ne_u32_e32 vcc, 0, v6
	v_cndmask_b32_e64 v6, v15, v13, s[0:1]
	v_cndmask_b32_e32 v7, v9, v12, vcc
	v_cndmask_b32_e32 v6, v3, v6, vcc
.LBB0_4:                                ;   in Loop: Header=BB0_2 Depth=1
	s_andn2_saveexec_b64 s[0:1], s[26:27]
	s_cbranch_execz .LBB0_6
; %bb.5:                                ;   in Loop: Header=BB0_2 Depth=1
	v_cvt_f32_u32_e32 v3, s24
	s_sub_i32 s26, 0, s24
	v_rcp_iflag_f32_e32 v3, v3
	v_mul_f32_e32 v3, 0x4f7ffffe, v3
	v_cvt_u32_f32_e32 v3, v3
	v_mul_lo_u32 v6, s26, v3
	v_mul_hi_u32 v6, v3, v6
	v_add_u32_e32 v3, v3, v6
	v_mul_hi_u32 v3, v10, v3
	v_mul_lo_u32 v6, v3, s24
	v_add_u32_e32 v7, 1, v3
	v_sub_u32_e32 v6, v10, v6
	v_subrev_u32_e32 v9, s24, v6
	v_cmp_le_u32_e32 vcc, s24, v6
	v_cndmask_b32_e32 v6, v6, v9, vcc
	v_cndmask_b32_e32 v3, v3, v7, vcc
	v_add_u32_e32 v7, 1, v3
	v_cmp_le_u32_e32 vcc, s24, v6
	v_cndmask_b32_e32 v6, v3, v7, vcc
	v_mov_b32_e32 v7, v8
.LBB0_6:                                ;   in Loop: Header=BB0_2 Depth=1
	s_or_b64 exec, exec, s[0:1]
	v_mul_lo_u32 v3, v7, s24
	v_mul_lo_u32 v9, v6, s25
	v_mad_u64_u32 v[12:13], s[0:1], v6, s24, 0
	s_load_dwordx2 s[0:1], s[6:7], 0x0
	s_load_dwordx2 s[24:25], s[2:3], 0x0
	v_add3_u32 v3, v13, v9, v3
	v_sub_co_u32_e32 v9, vcc, v10, v12
	v_subb_co_u32_e32 v3, vcc, v11, v3, vcc
	s_waitcnt lgkmcnt(0)
	v_mul_lo_u32 v10, s0, v3
	v_mul_lo_u32 v11, s1, v9
	v_mad_u64_u32 v[1:2], s[0:1], s0, v9, v[1:2]
	s_add_u32 s22, s22, 1
	s_addc_u32 s23, s23, 0
	s_add_u32 s2, s2, 8
	v_mul_lo_u32 v3, s24, v3
	v_mul_lo_u32 v12, s25, v9
	v_mad_u64_u32 v[4:5], s[0:1], s24, v9, v[4:5]
	v_add3_u32 v2, v11, v2, v10
	s_addc_u32 s3, s3, 0
	v_mov_b32_e32 v9, s10
	s_add_u32 s6, s6, 8
	v_mov_b32_e32 v10, s11
	s_addc_u32 s7, s7, 0
	v_cmp_ge_u64_e32 vcc, s[22:23], v[9:10]
	s_add_u32 s20, s20, 8
	v_add3_u32 v5, v12, v5, v3
	s_addc_u32 s21, s21, 0
	s_cbranch_vccnz .LBB0_9
; %bb.7:                                ;   in Loop: Header=BB0_2 Depth=1
	v_mov_b32_e32 v11, v7
	v_mov_b32_e32 v10, v6
	s_branch .LBB0_2
.LBB0_8:
	v_mov_b32_e32 v5, v2
	v_mov_b32_e32 v6, v10
	;; [unrolled: 1-line block ×4, first 2 shown]
.LBB0_9:
	s_load_dwordx2 s[2:3], s[4:5], 0x28
	s_lshl_b64 s[6:7], s[10:11], 3
	s_add_u32 s4, s18, s6
	s_addc_u32 s5, s19, s7
                                        ; implicit-def: $vgpr57
	s_waitcnt lgkmcnt(0)
	v_cmp_gt_u64_e64 s[0:1], s[2:3], v[6:7]
	v_cmp_le_u64_e32 vcc, s[2:3], v[6:7]
	s_and_saveexec_b64 s[2:3], vcc
	s_xor_b64 s[2:3], exec, s[2:3]
; %bb.10:
	s_mov_b32 s10, 0x4bda130
	v_mul_hi_u32 v1, v0, s10
	v_mul_u32_u24_e32 v1, 54, v1
	v_sub_u32_e32 v57, v0, v1
                                        ; implicit-def: $vgpr0
                                        ; implicit-def: $vgpr1_vgpr2
; %bb.11:
	s_or_saveexec_b64 s[2:3], s[2:3]
	s_load_dwordx2 s[4:5], s[4:5], 0x0
                                        ; implicit-def: $vgpr13
                                        ; implicit-def: $vgpr54
                                        ; implicit-def: $vgpr56
                                        ; implicit-def: $vgpr22
                                        ; implicit-def: $vgpr50
                                        ; implicit-def: $vgpr40
                                        ; implicit-def: $vgpr20
                                        ; implicit-def: $vgpr32
                                        ; implicit-def: $vgpr36
                                        ; implicit-def: $vgpr24
                                        ; implicit-def: $vgpr42
                                        ; implicit-def: $vgpr3
                                        ; implicit-def: $vgpr11
                                        ; implicit-def: $vgpr38
                                        ; implicit-def: $vgpr30
                                        ; implicit-def: $vgpr48
                                        ; implicit-def: $vgpr44
                                        ; implicit-def: $vgpr9
	s_xor_b64 exec, exec, s[2:3]
	s_cbranch_execz .LBB0_15
; %bb.12:
	s_add_u32 s6, s16, s6
	s_addc_u32 s7, s17, s7
	s_load_dwordx2 s[6:7], s[6:7], 0x0
	s_mov_b32 s10, 0x4bda130
	v_mul_hi_u32 v3, v0, s10
                                        ; implicit-def: $vgpr43
                                        ; implicit-def: $vgpr47
	s_waitcnt lgkmcnt(0)
	v_mul_lo_u32 v10, s7, v6
	v_mul_lo_u32 v11, s6, v7
	v_mad_u64_u32 v[8:9], s[6:7], s6, v6, 0
	v_mul_u32_u24_e32 v3, 54, v3
	v_sub_u32_e32 v57, v0, v3
	v_add3_u32 v9, v9, v11, v10
	v_lshlrev_b64 v[8:9], 3, v[8:9]
	v_mov_b32_e32 v0, s13
	v_add_co_u32_e32 v3, vcc, s12, v8
	v_addc_co_u32_e32 v8, vcc, v0, v9, vcc
	v_lshlrev_b64 v[0:1], 3, v[1:2]
	s_movk_i32 s6, 0x1000
	v_add_co_u32_e32 v2, vcc, v3, v0
	v_addc_co_u32_e32 v3, vcc, v8, v1, vcc
	v_lshlrev_b32_e32 v8, 3, v57
	v_add_co_u32_e32 v0, vcc, v2, v8
	v_addc_co_u32_e32 v1, vcc, 0, v3, vcc
	v_or_b32_e32 v8, 0x1200, v8
	v_add_co_u32_e32 v8, vcc, v2, v8
	v_addc_co_u32_e32 v9, vcc, 0, v3, vcc
	v_add_co_u32_e32 v14, vcc, s6, v0
	v_addc_co_u32_e32 v15, vcc, 0, v1, vcc
	global_load_dwordx2 v[39:40], v[14:15], off offset:944
	global_load_dwordx2 v[31:32], v[0:1], off offset:3168
	;; [unrolled: 1-line block ×5, first 2 shown]
	global_load_dwordx2 v[12:13], v[0:1], off
	global_load_dwordx2 v[21:22], v[0:1], off offset:432
	global_load_dwordx2 v[19:20], v[0:1], off offset:864
	;; [unrolled: 1-line block ×7, first 2 shown]
	global_load_dwordx2 v[55:56], v[8:9], off
	global_load_dwordx2 v[37:38], v[0:1], off offset:4032
	v_cmp_gt_u32_e32 vcc, 18, v57
                                        ; implicit-def: $vgpr8
	s_and_saveexec_b64 s[6:7], vcc
	s_cbranch_execz .LBB0_14
; %bb.13:
	v_add_co_u32_e32 v14, vcc, 0x1000, v0
	v_addc_co_u32_e32 v15, vcc, 0, v1, vcc
	global_load_dwordx2 v[8:9], v[0:1], off offset:2160
	global_load_dwordx2 v[43:44], v[14:15], off offset:368
	;; [unrolled: 1-line block ×3, first 2 shown]
.LBB0_14:
	s_or_b64 exec, exec, s[6:7]
.LBB0_15:
	s_or_b64 exec, exec, s[2:3]
	s_waitcnt vmcnt(1)
	v_add_f32_e32 v0, v53, v55
	v_add_f32_e32 v1, v31, v35
	v_add_f32_e32 v14, v12, v53
	v_fmac_f32_e32 v12, -0.5, v0
	v_add_f32_e32 v0, v19, v31
	v_fmac_f32_e32 v19, -0.5, v1
	v_sub_f32_e32 v1, v32, v36
	v_mov_b32_e32 v15, v19
	v_add_f32_e32 v17, v41, v2
	v_mad_u32_u24 v59, v57, 12, 0
	v_add_f32_e32 v0, v0, v35
	v_fmac_f32_e32 v15, 0xbf5db3d7, v1
	v_add_f32_e32 v16, v23, v41
	v_fmac_f32_e32 v23, -0.5, v17
	v_add_u32_e32 v17, 0x510, v59
	ds_write2_b32 v17, v0, v15 offset1:1
	v_sub_f32_e32 v0, v42, v3
	v_mov_b32_e32 v15, v23
	v_add_f32_e32 v16, v16, v2
	v_fmac_f32_e32 v15, 0xbf5db3d7, v0
	v_add_u32_e32 v17, 0x798, v59
	ds_write2_b32 v17, v16, v15 offset1:1
	v_sub_f32_e32 v15, v54, v56
	v_mov_b32_e32 v16, v12
	v_add_f32_e32 v17, v49, v39
	v_fmac_f32_e32 v16, 0xbf5db3d7, v15
	v_fmac_f32_e32 v12, 0x3f5db3d7, v15
	v_add_f32_e32 v15, v21, v49
	v_fmac_f32_e32 v21, -0.5, v17
	v_fmac_f32_e32 v19, 0x3f5db3d7, v1
	s_waitcnt vmcnt(0)
	v_add_f32_e32 v1, v37, v29
	v_add_f32_e32 v14, v14, v55
	v_sub_f32_e32 v17, v50, v40
	v_mov_b32_e32 v18, v21
	v_fmac_f32_e32 v23, 0x3f5db3d7, v0
	v_add_f32_e32 v0, v10, v37
	v_fmac_f32_e32 v10, -0.5, v1
	ds_write2_b32 v59, v14, v16 offset1:1
	v_add_f32_e32 v16, v47, v43
	v_fmac_f32_e32 v18, 0xbf5db3d7, v17
	v_fmac_f32_e32 v21, 0x3f5db3d7, v17
	v_mov_b32_e32 v1, v10
	v_sub_f32_e32 v17, v38, v30
	v_add_f32_e32 v15, v15, v39
	v_add_f32_e32 v14, v43, v8
	v_fmac_f32_e32 v8, -0.5, v16
	v_fmac_f32_e32 v1, 0xbf5db3d7, v17
	v_fmac_f32_e32 v10, 0x3f5db3d7, v17
	v_sub_f32_e32 v17, v44, v48
	ds_write2_b32 v59, v15, v18 offset0:162 offset1:163
	v_mov_b32_e32 v16, v8
	v_add_u32_e32 v15, 0x400, v59
	v_add_f32_e32 v0, v0, v29
	v_fmac_f32_e32 v16, 0xbf5db3d7, v17
	v_fmac_f32_e32 v8, 0x3f5db3d7, v17
	ds_write2_b32 v15, v19, v23 offset0:70 offset1:232
	v_add_u32_e32 v15, 0xa20, v59
	v_add_f32_e32 v19, v47, v14
	v_cmp_gt_u32_e32 vcc, 18, v57
	ds_write2_b32 v15, v0, v1 offset1:1
	ds_write2_b32 v59, v12, v21 offset0:2 offset1:164
	ds_write_b32 v59, v10 offset:2600
	s_and_saveexec_b64 s[2:3], vcc
	s_cbranch_execz .LBB0_17
; %bb.16:
	v_add_u32_e32 v12, 0xca8, v59
	ds_write2_b32 v12, v19, v16 offset1:1
	ds_write_b32 v59, v8 offset:3248
.LBB0_17:
	s_or_b64 exec, exec, s[2:3]
	v_lshlrev_b32_e32 v12, 3, v57
	v_sub_u32_e32 v58, v59, v12
	v_add_u32_e32 v12, 0x400, v58
	s_waitcnt lgkmcnt(0)
	; wave barrier
	s_waitcnt lgkmcnt(0)
	ds_read2_b32 v[14:15], v58 offset1:54
	ds_read2_b32 v[51:52], v58 offset0:144 offset1:198
	ds_read2_b32 v[45:46], v12 offset0:32 offset1:86
	;; [unrolled: 1-line block ×3, first 2 shown]
	v_add_u32_e32 v12, 0x800, v58
	ds_read2_b32 v[27:28], v12 offset0:64 offset1:118
	v_add_u32_e32 v12, 0xa00, v58
	ds_read2_b32 v[25:26], v12 offset0:80 offset1:134
	v_cmp_gt_u32_e64 s[2:3], 36, v57
	s_and_saveexec_b64 s[6:7], s[2:3]
	s_cbranch_execz .LBB0_19
; %bb.18:
	v_add_u32_e32 v0, 0x600, v58
	ds_read2_b32 v[18:19], v0 offset0:12 offset1:156
	ds_read2_b32 v[16:17], v12 offset0:44 offset1:188
	;; [unrolled: 1-line block ×3, first 2 shown]
	s_waitcnt lgkmcnt(2)
	v_mov_b32_e32 v10, v18
	s_waitcnt lgkmcnt(1)
	v_mov_b32_e32 v8, v17
.LBB0_19:
	s_or_b64 exec, exec, s[6:7]
	v_add_f32_e32 v17, v54, v56
	v_add_f32_e32 v12, v13, v54
	v_fmac_f32_e32 v13, -0.5, v17
	v_sub_f32_e32 v17, v53, v55
	v_mov_b32_e32 v23, v13
	v_add_f32_e32 v18, v50, v40
	v_fmac_f32_e32 v23, 0x3f5db3d7, v17
	v_fmac_f32_e32 v13, 0xbf5db3d7, v17
	v_add_f32_e32 v17, v22, v50
	v_fmac_f32_e32 v22, -0.5, v18
	v_sub_f32_e32 v18, v49, v39
	v_mov_b32_e32 v39, v22
	v_fmac_f32_e32 v39, 0x3f5db3d7, v18
	v_fmac_f32_e32 v22, 0xbf5db3d7, v18
	v_add_f32_e32 v18, v20, v32
	v_add_f32_e32 v17, v17, v40
	;; [unrolled: 1-line block ×4, first 2 shown]
	v_fmac_f32_e32 v20, -0.5, v18
	v_sub_f32_e32 v18, v31, v35
	v_mov_b32_e32 v31, v20
	v_fmac_f32_e32 v31, 0x3f5db3d7, v18
	v_fmac_f32_e32 v20, 0xbf5db3d7, v18
	v_add_f32_e32 v18, v24, v42
	v_add_f32_e32 v32, v18, v3
	;; [unrolled: 1-line block ×3, first 2 shown]
	v_fmac_f32_e32 v24, -0.5, v3
	v_sub_f32_e32 v2, v41, v2
	v_mov_b32_e32 v35, v24
	v_add_f32_e32 v3, v38, v30
	v_add_f32_e32 v12, v12, v56
	v_fmac_f32_e32 v35, 0x3f5db3d7, v2
	v_fmac_f32_e32 v24, 0xbf5db3d7, v2
	v_add_f32_e32 v2, v11, v38
	v_fmac_f32_e32 v11, -0.5, v3
	v_sub_f32_e32 v18, v37, v29
	v_mov_b32_e32 v3, v11
	v_add_f32_e32 v21, v48, v44
	s_waitcnt lgkmcnt(0)
	; wave barrier
	s_waitcnt lgkmcnt(0)
	ds_write2_b32 v59, v12, v23 offset1:1
	ds_write2_b32 v59, v17, v39 offset0:162 offset1:163
	ds_write2_b32 v59, v13, v22 offset0:2 offset1:164
	v_add_u32_e32 v12, 0x510, v59
	v_fmac_f32_e32 v3, 0x3f5db3d7, v18
	v_fmac_f32_e32 v11, 0xbf5db3d7, v18
	v_add_f32_e32 v18, v44, v9
	v_fmac_f32_e32 v9, -0.5, v21
	ds_write2_b32 v12, v40, v31 offset1:1
	v_add_u32_e32 v12, 0x798, v59
	v_sub_f32_e32 v29, v43, v47
	v_mov_b32_e32 v21, v9
	ds_write2_b32 v12, v32, v35 offset1:1
	v_add_u32_e32 v12, 0x400, v59
	v_add_f32_e32 v2, v2, v30
	v_add_f32_e32 v18, v48, v18
	v_fmac_f32_e32 v21, 0x3f5db3d7, v29
	v_fmac_f32_e32 v9, 0xbf5db3d7, v29
	ds_write2_b32 v12, v20, v24 offset0:70 offset1:232
	v_add_u32_e32 v12, 0xa20, v59
	ds_write2_b32 v12, v2, v3 offset1:1
	ds_write_b32 v59, v11 offset:2600
	s_and_saveexec_b64 s[6:7], vcc
	s_cbranch_execz .LBB0_21
; %bb.20:
	v_add_u32_e32 v12, 0xca8, v59
	ds_write2_b32 v12, v18, v21 offset1:1
	ds_write_b32 v59, v9 offset:3248
.LBB0_21:
	s_or_b64 exec, exec, s[6:7]
	v_add_u32_e32 v17, 0x400, v58
	s_waitcnt lgkmcnt(0)
	; wave barrier
	s_waitcnt lgkmcnt(0)
	ds_read2_b32 v[12:13], v58 offset1:54
	ds_read2_b32 v[37:38], v58 offset0:144 offset1:198
	ds_read2_b32 v[35:36], v17 offset0:32 offset1:86
	;; [unrolled: 1-line block ×3, first 2 shown]
	v_add_u32_e32 v17, 0x800, v58
	v_add_u32_e32 v20, 0xa00, v58
	ds_read2_b32 v[29:30], v17 offset0:64 offset1:118
	ds_read2_b32 v[23:24], v20 offset0:80 offset1:134
	s_and_saveexec_b64 s[6:7], s[2:3]
	s_cbranch_execz .LBB0_23
; %bb.22:
	v_add_u32_e32 v2, 0x600, v58
	ds_read2_b32 v[17:18], v2 offset0:12 offset1:156
	ds_read2_b32 v[21:22], v20 offset0:44 offset1:188
	;; [unrolled: 1-line block ×3, first 2 shown]
	s_waitcnt lgkmcnt(2)
	v_mov_b32_e32 v11, v17
	s_waitcnt lgkmcnt(1)
	v_mov_b32_e32 v9, v22
.LBB0_23:
	s_or_b64 exec, exec, s[6:7]
	s_movk_i32 s6, 0xab
	v_mul_lo_u16_sdwa v17, v57, s6 dst_sel:DWORD dst_unused:UNUSED_PAD src0_sel:BYTE_0 src1_sel:DWORD
	v_lshrrev_b16_e32 v83, 9, v17
	v_mul_lo_u16_e32 v17, 3, v83
	v_sub_u16_e32 v84, v57, v17
	v_mov_b32_e32 v17, 5
	v_mul_u32_u24_sdwa v20, v84, v17 dst_sel:DWORD dst_unused:UNUSED_PAD src0_sel:BYTE_0 src1_sel:DWORD
	v_lshlrev_b32_e32 v20, 3, v20
	global_load_dwordx4 v[53:56], v20, s[8:9]
	v_add_u32_e32 v39, 54, v57
	v_mul_lo_u16_sdwa v22, v39, s6 dst_sel:DWORD dst_unused:UNUSED_PAD src0_sel:BYTE_0 src1_sel:DWORD
	v_lshrrev_b16_e32 v85, 9, v22
	v_mul_lo_u16_e32 v22, 3, v85
	v_sub_u16_e32 v86, v39, v22
	v_mul_u32_u24_sdwa v22, v86, v17 dst_sel:DWORD dst_unused:UNUSED_PAD src0_sel:BYTE_0 src1_sel:DWORD
	v_lshlrev_b32_e32 v22, 3, v22
	v_add_u32_e32 v40, 0x6c, v57
	global_load_dwordx4 v[59:62], v22, s[8:9]
	global_load_dwordx4 v[63:66], v20, s[8:9] offset:16
	global_load_dwordx4 v[67:70], v22, s[8:9] offset:16
	global_load_dwordx2 v[79:80], v20, s[8:9] offset:32
	global_load_dwordx2 v[81:82], v22, s[8:9] offset:32
	v_mul_lo_u16_sdwa v20, v40, s6 dst_sel:DWORD dst_unused:UNUSED_PAD src0_sel:BYTE_0 src1_sel:DWORD
	v_lshrrev_b16_e32 v44, 9, v20
	v_mul_lo_u16_e32 v20, 3, v44
	v_sub_u16_e32 v47, v40, v20
	v_mul_u32_u24_sdwa v17, v47, v17 dst_sel:DWORD dst_unused:UNUSED_PAD src0_sel:BYTE_0 src1_sel:DWORD
	v_lshlrev_b32_e32 v17, 3, v17
	global_load_dwordx4 v[71:74], v17, s[8:9]
	global_load_dwordx4 v[75:78], v17, s[8:9] offset:16
	s_waitcnt vmcnt(7) lgkmcnt(4)
	v_mul_f32_e32 v20, v37, v54
	v_mul_f32_e32 v22, v51, v54
	v_fmac_f32_e32 v20, v51, v53
	v_fma_f32 v41, v37, v53, -v22
	global_load_dwordx2 v[53:54], v17, s[8:9] offset:32
	s_waitcnt lgkmcnt(3)
	v_mul_f32_e32 v43, v35, v56
	v_mul_f32_e32 v42, v45, v56
	s_waitcnt vmcnt(7)
	v_mul_f32_e32 v22, v52, v60
	v_fmac_f32_e32 v43, v45, v55
	v_fma_f32 v45, v35, v55, -v42
	v_mul_f32_e32 v17, v38, v60
	v_mul_f32_e32 v35, v36, v62
	s_waitcnt vmcnt(6) lgkmcnt(2)
	v_mul_f32_e32 v51, v31, v64
	v_fma_f32 v22, v38, v59, -v22
	v_mul_f32_e32 v38, v33, v64
	v_fmac_f32_e32 v17, v52, v59
	v_mul_f32_e32 v37, v46, v62
	s_waitcnt lgkmcnt(1)
	v_mul_f32_e32 v48, v29, v66
	v_fmac_f32_e32 v35, v46, v61
	v_mul_f32_e32 v46, v27, v66
	s_waitcnt vmcnt(4) lgkmcnt(0)
	v_mul_f32_e32 v56, v23, v80
	v_mul_f32_e32 v59, v25, v80
	v_fmac_f32_e32 v51, v33, v63
	v_fma_f32 v33, v31, v63, -v38
	s_waitcnt vmcnt(3)
	v_mul_f32_e32 v31, v26, v82
	v_fma_f32 v42, v36, v61, -v37
	v_mul_f32_e32 v37, v34, v68
	v_fmac_f32_e32 v48, v27, v65
	v_fma_f32 v46, v29, v65, -v46
	s_waitcnt vmcnt(1)
	v_mul_f32_e32 v29, v21, v78
	v_fmac_f32_e32 v56, v25, v79
	v_fma_f32 v25, v23, v79, -v59
	v_fma_f32 v23, v24, v81, -v31
	v_mul_f32_e32 v52, v32, v68
	v_mul_f32_e32 v49, v3, v72
	;; [unrolled: 1-line block ×3, first 2 shown]
	v_fma_f32 v32, v32, v67, -v37
	v_mul_f32_e32 v37, v19, v76
	v_mul_f32_e32 v62, v16, v78
	v_fmac_f32_e32 v29, v16, v77
	v_fmac_f32_e32 v52, v34, v67
	v_mul_f32_e32 v34, v18, v76
	v_fmac_f32_e32 v49, v1, v71
	v_fma_f32 v1, v3, v71, -v61
	v_fma_f32 v3, v18, v75, -v37
	v_fmac_f32_e32 v34, v19, v75
	v_mul_f32_e32 v27, v11, v74
	v_mul_f32_e32 v38, v10, v74
	v_fmac_f32_e32 v27, v10, v73
	v_fma_f32 v10, v11, v73, -v38
	v_fma_f32 v11, v21, v77, -v62
	v_mul_f32_e32 v36, v30, v70
	v_mul_f32_e32 v60, v24, v82
	v_sub_f32_e32 v24, v51, v56
	v_fmac_f32_e32 v36, v28, v69
	v_fmac_f32_e32 v60, v26, v81
	v_mul_f32_e32 v55, v28, v70
	v_fma_f32 v28, v30, v69, -v55
	s_waitcnt lgkmcnt(0)
	; wave barrier
	s_waitcnt vmcnt(0)
	v_mul_f32_e32 v50, v9, v54
	v_fmac_f32_e32 v50, v8, v53
	v_mul_f32_e32 v8, v8, v54
	v_fma_f32 v31, v9, v53, -v8
	v_add_f32_e32 v8, v14, v43
	v_add_f32_e32 v16, v8, v48
	;; [unrolled: 1-line block ×3, first 2 shown]
	v_fma_f32 v18, -0.5, v8, v14
	v_sub_f32_e32 v8, v45, v46
	v_mov_b32_e32 v19, v18
	v_fmac_f32_e32 v19, 0xbf5db3d7, v8
	v_fmac_f32_e32 v18, 0x3f5db3d7, v8
	v_add_f32_e32 v8, v20, v51
	v_add_f32_e32 v21, v8, v56
	;; [unrolled: 1-line block ×3, first 2 shown]
	v_fmac_f32_e32 v20, -0.5, v8
	v_sub_f32_e32 v9, v33, v25
	v_mov_b32_e32 v8, v20
	v_fmac_f32_e32 v8, 0xbf5db3d7, v9
	v_fmac_f32_e32 v20, 0x3f5db3d7, v9
	v_add_f32_e32 v9, v33, v25
	v_fma_f32 v9, -0.5, v9, v41
	v_mov_b32_e32 v14, v9
	v_fmac_f32_e32 v14, 0x3f5db3d7, v24
	v_add_f32_e32 v26, v16, v21
	v_sub_f32_e32 v53, v16, v21
	v_add_f32_e32 v16, v15, v35
	v_fmac_f32_e32 v9, 0xbf5db3d7, v24
	v_mul_f32_e32 v24, 0xbf5db3d7, v14
	v_add_f32_e32 v21, v16, v36
	v_add_f32_e32 v16, v35, v36
	v_fmac_f32_e32 v24, 0.5, v8
	v_fmac_f32_e32 v15, -0.5, v16
	v_add_f32_e32 v30, v19, v24
	v_sub_f32_e32 v56, v19, v24
	v_sub_f32_e32 v16, v42, v28
	v_mov_b32_e32 v24, v15
	v_fmac_f32_e32 v24, 0xbf5db3d7, v16
	v_fmac_f32_e32 v15, 0x3f5db3d7, v16
	v_add_f32_e32 v16, v17, v52
	v_mul_f32_e32 v37, 0xbf5db3d7, v9
	v_add_f32_e32 v51, v16, v60
	v_add_f32_e32 v16, v52, v60
	v_fmac_f32_e32 v37, -0.5, v20
	v_fmac_f32_e32 v17, -0.5, v16
	v_add_f32_e32 v38, v18, v37
	v_sub_f32_e32 v37, v18, v37
	v_sub_f32_e32 v18, v32, v23
	v_mov_b32_e32 v16, v17
	v_fmac_f32_e32 v16, 0xbf5db3d7, v18
	v_fmac_f32_e32 v17, 0x3f5db3d7, v18
	v_add_f32_e32 v18, v32, v23
	v_fma_f32 v18, -0.5, v18, v22
	v_sub_f32_e32 v52, v52, v60
	v_mov_b32_e32 v19, v18
	v_fmac_f32_e32 v18, 0xbf5db3d7, v52
	v_mul_f32_e32 v54, 0xbf5db3d7, v18
	v_fmac_f32_e32 v19, 0x3f5db3d7, v52
	v_fmac_f32_e32 v54, -0.5, v17
	v_mul_f32_e32 v52, 0xbf5db3d7, v19
	v_add_f32_e32 v62, v15, v54
	v_sub_f32_e32 v64, v15, v54
	v_add_f32_e32 v15, v27, v29
	v_add_f32_e32 v59, v21, v51
	v_fmac_f32_e32 v52, 0.5, v16
	v_sub_f32_e32 v61, v21, v51
	v_fma_f32 v21, -0.5, v15, v0
	v_add_f32_e32 v60, v24, v52
	v_sub_f32_e32 v63, v24, v52
	v_sub_f32_e32 v15, v10, v11
	v_mov_b32_e32 v24, v21
	v_mov_b32_e32 v54, 2
	v_fmac_f32_e32 v24, 0xbf5db3d7, v15
	v_fmac_f32_e32 v21, 0x3f5db3d7, v15
	v_mul_u32_u24_e32 v15, 0x48, v83
	v_lshlrev_b32_sdwa v51, v54, v84 dst_sel:DWORD dst_unused:UNUSED_PAD src0_sel:DWORD src1_sel:BYTE_0
	v_add3_u32 v51, 0, v15, v51
	v_add_f32_e32 v15, v34, v50
	v_fma_f32 v15, -0.5, v15, v49
	ds_write2_b32 v51, v26, v30 offset1:3
	v_sub_f32_e32 v30, v3, v31
	v_mov_b32_e32 v26, v15
	v_fmac_f32_e32 v26, 0xbf5db3d7, v30
	v_fmac_f32_e32 v15, 0x3f5db3d7, v30
	v_add_f32_e32 v30, v3, v31
	v_fma_f32 v30, -0.5, v30, v1
	ds_write2_b32 v51, v38, v53 offset0:6 offset1:9
	v_sub_f32_e32 v38, v34, v50
	v_mov_b32_e32 v52, v30
	v_fmac_f32_e32 v52, 0x3f5db3d7, v38
	v_fmac_f32_e32 v30, 0xbf5db3d7, v38
	v_mul_f32_e32 v55, 0xbf5db3d7, v52
	ds_write2_b32 v51, v56, v37 offset0:12 offset1:15
	v_mul_f32_e32 v56, 0xbf5db3d7, v30
	v_fmac_f32_e32 v55, 0.5, v26
	v_fmac_f32_e32 v56, -0.5, v15
	v_mul_u32_u24_e32 v38, 0x48, v85
	v_lshlrev_b32_sdwa v53, v54, v86 dst_sel:DWORD dst_unused:UNUSED_PAD src0_sel:DWORD src1_sel:BYTE_0
	v_sub_f32_e32 v37, v24, v55
	v_add3_u32 v53, 0, v38, v53
	v_sub_f32_e32 v38, v21, v56
	ds_write2_b32 v53, v59, v60 offset1:3
	ds_write2_b32 v53, v62, v61 offset0:6 offset1:9
	ds_write2_b32 v53, v63, v64 offset0:12 offset1:15
	s_and_saveexec_b64 s[6:7], s[2:3]
	s_cbranch_execz .LBB0_25
; %bb.24:
	v_add_f32_e32 v0, v0, v27
	v_add_f32_e32 v34, v49, v34
	v_add_f32_e32 v0, v0, v29
	v_add_f32_e32 v34, v34, v50
	v_sub_f32_e32 v49, v0, v34
	v_add_f32_e32 v0, v0, v34
	v_mul_u32_u24_e32 v34, 0x48, v44
	v_lshlrev_b32_sdwa v50, v54, v47 dst_sel:DWORD dst_unused:UNUSED_PAD src0_sel:DWORD src1_sel:BYTE_0
	v_add_f32_e32 v24, v24, v55
	v_add3_u32 v34, 0, v34, v50
	v_add_f32_e32 v21, v21, v56
	ds_write2_b32 v34, v0, v24 offset1:3
	ds_write2_b32 v34, v21, v49 offset0:6 offset1:9
	ds_write2_b32 v34, v37, v38 offset0:12 offset1:15
.LBB0_25:
	s_or_b64 exec, exec, s[6:7]
	v_add_f32_e32 v21, v45, v46
	v_add_f32_e32 v0, v12, v45
	v_fma_f32 v12, -0.5, v21, v12
	v_mul_f32_e32 v14, 0.5, v14
	v_sub_f32_e32 v21, v43, v48
	v_mov_b32_e32 v24, v12
	v_fmac_f32_e32 v14, 0x3f5db3d7, v8
	v_mul_f32_e32 v8, -0.5, v9
	v_fmac_f32_e32 v24, 0x3f5db3d7, v21
	v_fmac_f32_e32 v12, 0xbf5db3d7, v21
	v_add_f32_e32 v21, v41, v33
	v_fmac_f32_e32 v8, 0x3f5db3d7, v20
	v_add_f32_e32 v0, v0, v46
	v_add_f32_e32 v21, v21, v25
	;; [unrolled: 1-line block ×3, first 2 shown]
	v_sub_f32_e32 v50, v12, v8
	v_add_f32_e32 v8, v42, v28
	v_add_f32_e32 v34, v0, v21
	v_sub_f32_e32 v48, v0, v21
	v_add_f32_e32 v0, v13, v42
	v_fmac_f32_e32 v13, -0.5, v8
	v_sub_f32_e32 v8, v35, v36
	v_mov_b32_e32 v9, v13
	v_fmac_f32_e32 v9, 0x3f5db3d7, v8
	v_fmac_f32_e32 v13, 0xbf5db3d7, v8
	v_add_f32_e32 v8, v22, v32
	v_add_f32_e32 v0, v0, v28
	v_add_f32_e32 v8, v8, v23
	v_add_f32_e32 v45, v24, v14
	v_sub_f32_e32 v49, v24, v14
	v_add_f32_e32 v35, v0, v8
	v_mul_f32_e32 v12, 0.5, v19
	v_mul_f32_e32 v14, -0.5, v18
	v_sub_f32_e32 v55, v0, v8
	v_add_f32_e32 v0, v10, v11
	v_fmac_f32_e32 v12, 0x3f5db3d7, v16
	v_fmac_f32_e32 v14, 0x3f5db3d7, v17
	v_fma_f32 v0, -0.5, v0, v2
	v_lshl_add_u32 v43, v57, 2, 0
	v_add_f32_e32 v36, v9, v12
	v_add_f32_e32 v54, v13, v14
	v_sub_f32_e32 v56, v9, v12
	v_sub_f32_e32 v59, v13, v14
	;; [unrolled: 1-line block ×3, first 2 shown]
	v_mov_b32_e32 v12, v0
	v_mul_f32_e32 v32, 0.5, v52
	v_mul_f32_e32 v33, -0.5, v30
	v_add_u32_e32 v13, 0x200, v43
	v_add_u32_e32 v28, 0x400, v58
	;; [unrolled: 1-line block ×4, first 2 shown]
	v_fmac_f32_e32 v12, 0x3f5db3d7, v8
	v_fmac_f32_e32 v0, 0xbf5db3d7, v8
	;; [unrolled: 1-line block ×4, first 2 shown]
	s_waitcnt lgkmcnt(0)
	; wave barrier
	s_waitcnt lgkmcnt(0)
	ds_read2_b32 v[14:15], v58 offset1:54
	ds_read2_b32 v[26:27], v43 offset0:108 offset1:162
	ds_read2_b32 v[24:25], v13 offset0:88 offset1:142
	;; [unrolled: 1-line block ×7, first 2 shown]
	v_sub_f32_e32 v41, v12, v32
	v_sub_f32_e32 v42, v0, v33
	s_waitcnt lgkmcnt(0)
	; wave barrier
	s_waitcnt lgkmcnt(0)
	ds_write2_b32 v51, v34, v45 offset1:3
	ds_write2_b32 v51, v46, v48 offset0:6 offset1:9
	ds_write2_b32 v51, v49, v50 offset0:12 offset1:15
	ds_write2_b32 v53, v35, v36 offset1:3
	ds_write2_b32 v53, v54, v55 offset0:6 offset1:9
	ds_write2_b32 v53, v56, v59 offset0:12 offset1:15
	s_and_saveexec_b64 s[6:7], s[2:3]
	s_cbranch_execz .LBB0_27
; %bb.26:
	v_add_f32_e32 v2, v2, v10
	v_add_f32_e32 v1, v1, v3
	;; [unrolled: 1-line block ×4, first 2 shown]
	v_mov_b32_e32 v11, 2
	v_add_f32_e32 v3, v2, v1
	v_sub_f32_e32 v1, v2, v1
	v_mul_u32_u24_e32 v2, 0x48, v44
	v_lshlrev_b32_sdwa v11, v11, v47 dst_sel:DWORD dst_unused:UNUSED_PAD src0_sel:DWORD src1_sel:BYTE_0
	v_add_f32_e32 v10, v12, v32
	v_add3_u32 v2, 0, v2, v11
	v_add_f32_e32 v0, v0, v33
	ds_write2_b32 v2, v3, v10 offset1:3
	ds_write2_b32 v2, v0, v1 offset0:6 offset1:9
	ds_write2_b32 v2, v41, v42 offset0:12 offset1:15
.LBB0_27:
	s_or_b64 exec, exec, s[6:7]
	v_mov_b32_e32 v0, 57
	v_mul_lo_u16_sdwa v0, v57, v0 dst_sel:DWORD dst_unused:UNUSED_PAD src0_sel:BYTE_0 src1_sel:DWORD
	v_lshrrev_b16_e32 v65, 10, v0
	v_mul_lo_u16_e32 v0, 18, v65
	v_sub_u16_e32 v66, v57, v0
	v_mov_b32_e32 v0, 15
	v_mul_u32_u24_sdwa v0, v66, v0 dst_sel:DWORD dst_unused:UNUSED_PAD src0_sel:BYTE_0 src1_sel:DWORD
	v_lshlrev_b32_e32 v56, 3, v0
	s_waitcnt lgkmcnt(0)
	; wave barrier
	s_waitcnt lgkmcnt(0)
	ds_read2_b32 v[10:11], v58 offset1:54
	ds_read2_b32 v[35:36], v43 offset0:108 offset1:162
	ds_read2_b32 v[52:53], v13 offset0:88 offset1:142
	;; [unrolled: 1-line block ×7, first 2 shown]
	global_load_dwordx4 v[0:3], v56, s[8:9] offset:168
	global_load_dwordx4 v[31:34], v56, s[8:9] offset:152
	global_load_dwordx4 v[44:47], v56, s[8:9] offset:136
	global_load_dwordx4 v[48:51], v56, s[8:9] offset:120
	s_waitcnt vmcnt(0) lgkmcnt(7)
	v_mul_f32_e32 v67, v11, v49
	v_fmac_f32_e32 v67, v15, v48
	v_mul_f32_e32 v15, v15, v49
	v_fma_f32 v15, v11, v48, -v15
	s_waitcnt lgkmcnt(6)
	v_mul_f32_e32 v48, v35, v51
	v_mul_f32_e32 v11, v26, v51
	v_fmac_f32_e32 v48, v26, v50
	v_fma_f32 v26, v35, v50, -v11
	v_mul_f32_e32 v35, v36, v45
	v_fmac_f32_e32 v35, v27, v44
	v_mul_f32_e32 v11, v27, v45
	s_waitcnt lgkmcnt(5)
	v_mul_f32_e32 v27, v52, v47
	v_fma_f32 v36, v36, v44, -v11
	v_fmac_f32_e32 v27, v24, v46
	v_mul_f32_e32 v11, v24, v47
	v_mul_f32_e32 v24, v25, v32
	s_waitcnt lgkmcnt(4)
	v_mul_f32_e32 v51, v54, v34
	v_mul_f32_e32 v49, v53, v32
	v_fma_f32 v50, v53, v31, -v24
	v_fmac_f32_e32 v51, v22, v33
	v_mul_f32_e32 v22, v22, v34
	v_mul_f32_e32 v53, v55, v1
	;; [unrolled: 1-line block ×3, first 2 shown]
	v_fma_f32 v11, v52, v46, -v11
	v_fmac_f32_e32 v49, v25, v31
	v_fma_f32 v52, v54, v33, -v22
	v_fmac_f32_e32 v53, v23, v0
	v_fma_f32 v54, v55, v0, -v1
	global_load_dwordx2 v[0:1], v56, s[8:9] offset:232
	global_load_dwordx4 v[22:25], v56, s[8:9] offset:216
	global_load_dwordx4 v[31:34], v56, s[8:9] offset:200
	;; [unrolled: 1-line block ×3, first 2 shown]
	s_waitcnt lgkmcnt(3)
	v_mul_f32_e32 v55, v12, v3
	v_fmac_f32_e32 v55, v8, v2
	s_waitcnt lgkmcnt(0)
	; wave barrier
	s_waitcnt vmcnt(0) lgkmcnt(0)
	v_mul_f32_e32 v56, v13, v45
	v_fmac_f32_e32 v56, v9, v44
	v_mul_f32_e32 v9, v9, v45
	v_fma_f32 v13, v13, v44, -v9
	v_mul_f32_e32 v44, v59, v47
	v_mul_f32_e32 v9, v20, v47
	v_fmac_f32_e32 v44, v20, v46
	v_fma_f32 v20, v59, v46, -v9
	v_mul_f32_e32 v45, v60, v32
	v_mul_f32_e32 v9, v21, v32
	v_fmac_f32_e32 v45, v21, v31
	;; [unrolled: 4-line block ×3, first 2 shown]
	v_mul_f32_e32 v19, v19, v23
	v_fmac_f32_e32 v9, v18, v33
	v_mul_f32_e32 v18, v18, v34
	v_fma_f32 v19, v62, v22, -v19
	v_mul_f32_e32 v22, v63, v25
	v_fma_f32 v18, v61, v33, -v18
	v_fmac_f32_e32 v22, v16, v24
	v_mul_f32_e32 v16, v16, v25
	v_mul_f32_e32 v23, v64, v1
	;; [unrolled: 1-line block ×3, first 2 shown]
	v_fma_f32 v16, v63, v24, -v16
	v_fmac_f32_e32 v23, v17, v0
	v_fma_f32 v0, v64, v0, -v1
	v_sub_f32_e32 v17, v14, v55
	v_sub_f32_e32 v1, v27, v9
	;; [unrolled: 1-line block ×5, first 2 shown]
	v_fma_f32 v18, v27, 2.0, -v1
	v_sub_f32_e32 v24, v48, v44
	v_fma_f32 v27, v26, 2.0, -v20
	v_sub_f32_e32 v16, v52, v16
	v_fma_f32 v26, v51, 2.0, -v22
	v_sub_f32_e32 v34, v67, v56
	v_sub_f32_e32 v13, v15, v13
	v_sub_f32_e32 v46, v49, v31
	;; [unrolled: 1-line block ×3, first 2 shown]
	v_add_f32_e32 v51, v17, v9
	v_fma_f32 v14, v14, 2.0, -v17
	v_fma_f32 v25, v48, 2.0, -v24
	;; [unrolled: 1-line block ×8, first 2 shown]
	v_add_f32_e32 v16, v24, v16
	v_sub_f32_e32 v21, v36, v21
	v_sub_f32_e32 v0, v54, v0
	;; [unrolled: 1-line block ×3, first 2 shown]
	v_fma_f32 v24, v24, 2.0, -v16
	v_sub_f32_e32 v26, v44, v47
	v_sub_f32_e32 v47, v15, v48
	v_mov_b32_e32 v60, v17
	v_sub_f32_e32 v45, v35, v45
	v_fma_f32 v36, v36, 2.0, -v21
	v_sub_f32_e32 v23, v53, v23
	v_fma_f32 v50, v54, 2.0, -v0
	;; [unrolled: 2-line block ×3, first 2 shown]
	v_add_f32_e32 v15, v34, v19
	v_sub_f32_e32 v19, v13, v46
	v_mul_f32_e32 v46, 0x3f3504f3, v24
	v_fmac_f32_e32 v60, 0xbf3504f3, v24
	v_mov_b32_e32 v24, v51
	v_fma_f32 v35, v35, 2.0, -v45
	v_fma_f32 v49, v53, 2.0, -v23
	v_sub_f32_e32 v22, v20, v22
	v_sub_f32_e32 v55, v36, v50
	v_fmac_f32_e32 v24, 0x3f3504f3, v16
	v_fma_f32 v13, v13, 2.0, -v19
	v_sub_f32_e32 v54, v35, v49
	v_fma_f32 v36, v36, 2.0, -v55
	v_sub_f32_e32 v23, v21, v23
	v_fmac_f32_e32 v24, 0x3f3504f3, v22
	v_fma_f32 v44, v44, 2.0, -v26
	v_fma_f32 v52, v34, 2.0, -v15
	;; [unrolled: 1-line block ×3, first 2 shown]
	v_add_f32_e32 v0, v45, v0
	v_fma_f32 v21, v21, 2.0, -v23
	v_mul_f32_e32 v49, 0x3f3504f3, v16
	v_fma_f32 v16, v51, 2.0, -v24
	v_sub_f32_e32 v51, v32, v36
	v_mov_b32_e32 v36, v13
	v_sub_f32_e32 v18, v14, v18
	v_fma_f32 v45, v45, 2.0, -v0
	v_sub_f32_e32 v35, v44, v34
	v_mov_b32_e32 v34, v52
	v_fmac_f32_e32 v36, 0xbf3504f3, v21
	v_fma_f32 v14, v14, 2.0, -v18
	v_fma_f32 v25, v25, 2.0, -v31
	;; [unrolled: 1-line block ×3, first 2 shown]
	v_fmac_f32_e32 v34, 0xbf3504f3, v45
	v_fmac_f32_e32 v36, 0xbf3504f3, v45
	v_mov_b32_e32 v45, v15
	v_sub_f32_e32 v25, v14, v25
	v_mul_f32_e32 v48, 0x3f3504f3, v20
	v_fmac_f32_e32 v60, 0x3f3504f3, v20
	v_add_f32_e32 v20, v18, v33
	v_fmac_f32_e32 v34, 0x3f3504f3, v21
	v_sub_f32_e32 v21, v47, v54
	v_fmac_f32_e32 v45, 0x3f3504f3, v0
	v_fma_f32 v14, v14, 2.0, -v25
	v_fma_f32 v18, v18, 2.0, -v20
	v_mul_f32_e32 v50, 0x3f3504f3, v22
	v_fma_f32 v22, v44, 2.0, -v35
	v_fma_f32 v53, v13, 2.0, -v36
	v_add_f32_e32 v13, v26, v55
	v_fma_f32 v44, v47, 2.0, -v21
	v_mov_b32_e32 v47, v19
	v_fmac_f32_e32 v45, 0x3f3504f3, v23
	v_fma_f32 v26, v26, 2.0, -v13
	v_fmac_f32_e32 v47, 0x3f3504f3, v23
	v_fma_f32 v54, v15, 2.0, -v45
	v_sub_f32_e32 v15, v14, v22
	v_mov_b32_e32 v22, v18
	v_fma_f32 v17, v17, 2.0, -v60
	v_fmac_f32_e32 v47, 0xbf3504f3, v0
	v_fmac_f32_e32 v22, 0xbf3504f3, v26
	v_mov_b32_e32 v64, v20
	v_fma_f32 v52, v52, 2.0, -v34
	v_fma_f32 v55, v19, 2.0, -v47
	v_mov_b32_e32 v19, v17
	v_mul_f32_e32 v59, 0x3f3504f3, v44
	v_fmac_f32_e32 v22, 0x3f3504f3, v44
	v_mov_b32_e32 v44, v60
	v_fmac_f32_e32 v64, 0x3f3504f3, v13
	v_fmac_f32_e32 v19, 0xbf6c835e, v52
	v_mov_b32_e32 v23, v16
	v_fmac_f32_e32 v44, 0x3ec3ef15, v34
	v_mul_f32_e32 v61, 0x3f3504f3, v21
	v_fmac_f32_e32 v64, 0x3f3504f3, v21
	v_mov_b32_e32 v0, v24
	v_mul_u32_u24_e32 v21, 0x120, v65
	v_fmac_f32_e32 v19, 0x3ec3ef15, v53
	v_fmac_f32_e32 v23, 0xbec3ef15, v54
	;; [unrolled: 1-line block ×4, first 2 shown]
	v_or_b32_sdwa v21, v21, v66 dst_sel:DWORD dst_unused:UNUSED_PAD src0_sel:DWORD src1_sel:BYTE_0
	v_fma_f32 v14, v14, 2.0, -v15
	v_fma_f32 v17, v17, 2.0, -v19
	v_mul_f32_e32 v56, 0x3f3504f3, v26
	v_fmac_f32_e32 v23, 0x3f6c835e, v55
	v_add_f32_e32 v26, v25, v51
	v_fma_f32 v63, v60, 2.0, -v44
	v_mul_f32_e32 v60, 0x3f3504f3, v13
	v_fma_f32 v13, v20, 2.0, -v64
	v_fmac_f32_e32 v0, 0x3ec3ef15, v47
	v_lshl_add_u32 v62, v21, 2, 0
	v_fma_f32 v18, v18, 2.0, -v22
	v_fma_f32 v16, v16, 2.0, -v23
	;; [unrolled: 1-line block ×4, first 2 shown]
	ds_write2_b32 v62, v14, v17 offset1:18
	ds_write2_b32 v62, v18, v16 offset0:36 offset1:54
	ds_write2_b32 v62, v25, v63 offset0:72 offset1:90
	;; [unrolled: 1-line block ×6, first 2 shown]
	v_add_u32_e32 v13, 0x200, v62
	v_add_u32_e32 v63, 0x600, v58
	ds_write2_b32 v13, v64, v0 offset0:124 offset1:142
	s_waitcnt lgkmcnt(0)
	; wave barrier
	s_waitcnt lgkmcnt(0)
	ds_read2_b32 v[13:14], v58 offset1:54
	ds_read2_b32 v[17:18], v28 offset0:32 offset1:86
	ds_read2_b32 v[15:16], v63 offset0:120 offset1:192
	;; [unrolled: 1-line block ×6, first 2 shown]
	ds_read_b32 v44, v43 offset:864
	s_and_saveexec_b64 s[2:3], vcc
	s_cbranch_execz .LBB0_29
; %bb.28:
	ds_read_b32 v37, v58 offset:2232
	ds_read_b32 v0, v43 offset:1080
	;; [unrolled: 1-line block ×3, first 2 shown]
.LBB0_29:
	s_or_b64 exec, exec, s[2:3]
	v_mul_f32_e32 v3, v8, v3
	v_fma_f32 v2, v12, v2, -v3
	v_sub_f32_e32 v2, v10, v2
	v_sub_f32_e32 v1, v2, v1
	v_add_f32_e32 v12, v1, v50
	v_sub_f32_e32 v12, v12, v49
	v_fma_f32 v3, v10, 2.0, -v2
	v_fma_f32 v2, v2, 2.0, -v1
	;; [unrolled: 1-line block ×4, first 2 shown]
	v_sub_f32_e32 v10, v2, v48
	v_mov_b32_e32 v30, v1
	v_sub_f32_e32 v8, v3, v8
	v_sub_f32_e32 v10, v10, v46
	v_fmac_f32_e32 v30, 0xbec3ef15, v55
	v_fma_f32 v3, v3, 2.0, -v8
	v_fma_f32 v9, v27, 2.0, -v33
	;; [unrolled: 1-line block ×3, first 2 shown]
	v_sub_f32_e32 v11, v8, v31
	v_fmac_f32_e32 v30, 0xbf6c835e, v54
	v_mov_b32_e32 v33, v10
	v_sub_f32_e32 v9, v3, v9
	v_mov_b32_e32 v28, v2
	v_fma_f32 v31, v1, 2.0, -v30
	v_fmac_f32_e32 v33, 0x3ec3ef15, v36
	v_add_f32_e32 v1, v11, v61
	v_fma_f32 v3, v3, 2.0, -v9
	v_fma_f32 v8, v8, 2.0, -v11
	;; [unrolled: 1-line block ×3, first 2 shown]
	v_fmac_f32_e32 v28, 0xbf6c835e, v53
	v_fmac_f32_e32 v33, 0xbf6c835e, v34
	v_sub_f32_e32 v34, v1, v60
	v_mov_b32_e32 v1, v12
	v_sub_f32_e32 v27, v3, v27
	v_fmac_f32_e32 v28, 0xbec3ef15, v52
	v_sub_f32_e32 v29, v8, v59
	v_fmac_f32_e32 v1, 0x3f6c835e, v47
	v_fma_f32 v3, v3, 2.0, -v27
	v_fma_f32 v2, v2, 2.0, -v28
	v_sub_f32_e32 v29, v29, v56
	v_sub_f32_e32 v32, v9, v35
	v_fmac_f32_e32 v1, 0xbec3ef15, v45
	v_fma_f32 v8, v8, 2.0, -v29
	v_fma_f32 v9, v9, 2.0, -v32
	;; [unrolled: 1-line block ×5, first 2 shown]
	s_waitcnt lgkmcnt(0)
	; wave barrier
	s_waitcnt lgkmcnt(0)
	ds_write2_b32 v62, v3, v2 offset1:18
	ds_write2_b32 v62, v8, v31 offset0:36 offset1:54
	ds_write2_b32 v62, v9, v10 offset0:72 offset1:90
	;; [unrolled: 1-line block ×6, first 2 shown]
	v_add_u32_e32 v2, 0x200, v62
	ds_write2_b32 v2, v34, v1 offset0:124 offset1:142
	v_add_u32_e32 v2, 0x400, v58
	v_add_u32_e32 v3, 0x800, v58
	s_waitcnt lgkmcnt(0)
	; wave barrier
	s_waitcnt lgkmcnt(0)
	ds_read2_b32 v[8:9], v58 offset1:54
	ds_read2_b32 v[27:28], v2 offset0:32 offset1:86
	ds_read2_b32 v[10:11], v63 offset0:120 offset1:192
	;; [unrolled: 1-line block ×5, first 2 shown]
	v_add_u32_e32 v2, 0xa00, v58
	ds_read2_b32 v[35:36], v2 offset0:98 offset1:152
	ds_read_b32 v12, v43 offset:864
	s_and_saveexec_b64 s[2:3], vcc
	s_cbranch_execz .LBB0_31
; %bb.30:
	ds_read_b32 v41, v58 offset:2232
	ds_read_b32 v1, v43 offset:1080
	;; [unrolled: 1-line block ×3, first 2 shown]
.LBB0_31:
	s_or_b64 exec, exec, s[2:3]
	s_and_saveexec_b64 s[2:3], s[0:1]
	s_cbranch_execz .LBB0_34
; %bb.32:
	v_lshlrev_b32_e32 v62, 1, v57
	v_add_u32_e32 v2, 0x1b0, v62
	v_mov_b32_e32 v3, 0
	v_lshlrev_b64 v[45:46], 3, v[2:3]
	v_add_u32_e32 v2, 0x144, v62
	v_mov_b32_e32 v43, s9
	v_add_co_u32_e64 v45, s[0:1], s8, v45
	v_lshlrev_b64 v[49:50], 3, v[2:3]
	v_addc_co_u32_e64 v46, s[0:1], v43, v46, s[0:1]
	v_add_co_u32_e64 v49, s[0:1], s8, v49
	global_load_dwordx4 v[45:48], v[45:46], off offset:2280
	v_addc_co_u32_e64 v50, s[0:1], v43, v50, s[0:1]
	global_load_dwordx4 v[49:52], v[49:50], off offset:2280
	v_lshlrev_b32_e32 v2, 1, v40
	v_lshlrev_b64 v[53:54], 3, v[2:3]
	v_lshlrev_b32_e32 v2, 1, v39
	v_add_co_u32_e64 v53, s[0:1], s8, v53
	v_addc_co_u32_e64 v54, s[0:1], v43, v54, s[0:1]
	global_load_dwordx4 v[53:56], v[53:54], off offset:2280
	v_lshlrev_b64 v[39:40], 3, v[2:3]
	v_mul_lo_u32 v64, s5, v6
	v_mul_lo_u32 v65, s4, v7
	v_mad_u64_u32 v[6:7], s[0:1], s4, v6, 0
	v_add_co_u32_e64 v39, s[0:1], s8, v39
	v_addc_co_u32_e64 v40, s[0:1], v43, v40, s[0:1]
	global_load_dwordx4 v[58:61], v[39:40], off offset:2280
	v_mov_b32_e32 v63, v3
	v_lshlrev_b64 v[39:40], 3, v[62:63]
	v_add3_u32 v7, v7, v65, v64
	v_add_co_u32_e64 v39, s[0:1], s8, v39
	v_addc_co_u32_e64 v40, s[0:1], v43, v40, s[0:1]
	global_load_dwordx4 v[62:65], v[39:40], off offset:2280
	s_mov_b32 s3, 0x38e38e39
	v_lshlrev_b64 v[6:7], 3, v[6:7]
	v_lshlrev_b64 v[4:5], 3, v[4:5]
	v_add_co_u32_e64 v6, s[0:1], s14, v6
	s_movk_i32 s4, 0x360
	s_movk_i32 s2, 0x120
	s_waitcnt vmcnt(4)
	v_mul_f32_e32 v2, v15, v46
	v_mul_f32_e32 v39, v26, v48
	s_waitcnt lgkmcnt(5)
	v_mul_f32_e32 v40, v10, v46
	s_waitcnt lgkmcnt(1)
	v_mul_f32_e32 v43, v36, v48
	v_fma_f32 v2, v10, v45, -v2
	v_fma_f32 v10, v36, v47, -v39
	v_fmac_f32_e32 v40, v15, v45
	v_fmac_f32_e32 v43, v26, v47
	s_waitcnt vmcnt(3)
	v_mul_f32_e32 v15, v24, v50
	v_mul_f32_e32 v26, v25, v52
	;; [unrolled: 1-line block ×3, first 2 shown]
	v_add_f32_e32 v39, v2, v10
	v_add_f32_e32 v46, v40, v43
	v_sub_f32_e32 v48, v2, v10
	s_waitcnt lgkmcnt(0)
	v_add_f32_e32 v2, v12, v2
	v_fma_f32 v15, v34, v49, -v15
	v_fma_f32 v26, v35, v51, -v26
	v_mul_f32_e32 v45, v35, v52
	v_fmac_f32_e32 v36, v24, v49
	v_fma_f32 v24, -0.5, v46, v44
	v_add_f32_e32 v35, v2, v10
	v_add_f32_e32 v2, v15, v26
	v_sub_f32_e32 v47, v40, v43
	v_add_f32_e32 v40, v44, v40
	v_fmac_f32_e32 v45, v25, v51
	v_fma_f32 v25, -0.5, v39, v12
	v_mov_b32_e32 v39, v24
	v_fma_f32 v44, -0.5, v2, v32
	v_sub_f32_e32 v10, v36, v45
	v_fmac_f32_e32 v24, 0xbf5db3d7, v48
	v_fmac_f32_e32 v39, 0x3f5db3d7, v48
	v_mov_b32_e32 v48, v44
	s_waitcnt vmcnt(2)
	v_mul_f32_e32 v49, v23, v54
	v_add_f32_e32 v12, v36, v45
	v_fmac_f32_e32 v44, 0x3f5db3d7, v10
	v_fmac_f32_e32 v48, 0xbf5db3d7, v10
	v_mul_f32_e32 v10, v20, v56
	v_add_f32_e32 v34, v40, v43
	v_mov_b32_e32 v40, v25
	v_fma_f32 v43, -0.5, v12, v22
	v_fma_f32 v2, v33, v53, -v49
	v_fma_f32 v10, v30, v55, -v10
	v_sub_f32_e32 v50, v15, v26
	v_fmac_f32_e32 v25, 0x3f5db3d7, v47
	v_fmac_f32_e32 v40, 0xbf5db3d7, v47
	v_mov_b32_e32 v47, v43
	v_add_f32_e32 v12, v2, v10
	v_add_f32_e32 v15, v32, v15
	v_fmac_f32_e32 v43, 0xbf5db3d7, v50
	v_fmac_f32_e32 v47, 0x3f5db3d7, v50
	v_fma_f32 v50, -0.5, v12, v31
	v_mul_f32_e32 v12, v33, v54
	v_add_f32_e32 v46, v15, v26
	v_fmac_f32_e32 v12, v23, v53
	v_mul_f32_e32 v15, v30, v56
	v_sub_f32_e32 v26, v2, v10
	v_add_f32_e32 v2, v31, v2
	v_fmac_f32_e32 v15, v20, v55
	v_add_f32_e32 v31, v2, v10
	v_add_f32_e32 v2, v21, v12
	;; [unrolled: 1-line block ×3, first 2 shown]
	s_waitcnt vmcnt(1)
	v_mul_f32_e32 v2, v18, v59
	v_mul_f32_e32 v10, v19, v61
	v_fma_f32 v2, v28, v58, -v2
	v_fma_f32 v10, v29, v60, -v10
	v_add_f32_e32 v36, v22, v36
	v_sub_f32_e32 v20, v12, v15
	v_mov_b32_e32 v23, v50
	v_add_f32_e32 v22, v12, v15
	v_add_f32_e32 v12, v2, v10
	v_fmac_f32_e32 v23, 0xbf5db3d7, v20
	v_fmac_f32_e32 v50, 0x3f5db3d7, v20
	v_fma_f32 v20, -0.5, v12, v9
	v_mul_f32_e32 v12, v28, v59
	v_mul_f32_e32 v15, v29, v61
	v_fmac_f32_e32 v12, v18, v58
	v_fmac_f32_e32 v15, v19, v60
	v_fma_f32 v49, -0.5, v22, v21
	v_add_f32_e32 v19, v12, v15
	v_sub_f32_e32 v21, v2, v10
	v_add_f32_e32 v2, v9, v2
	v_fma_f32 v19, -0.5, v19, v14
	v_add_f32_e32 v10, v2, v10
	v_add_f32_e32 v2, v14, v12
	v_mov_b32_e32 v22, v49
	v_sub_f32_e32 v18, v12, v15
	v_mov_b32_e32 v29, v20
	v_mov_b32_e32 v28, v19
	v_add_f32_e32 v9, v2, v15
	s_waitcnt vmcnt(0)
	v_mul_f32_e32 v2, v17, v63
	v_mul_f32_e32 v12, v16, v65
	v_fmac_f32_e32 v22, 0x3f5db3d7, v26
	v_fmac_f32_e32 v49, 0xbf5db3d7, v26
	;; [unrolled: 1-line block ×6, first 2 shown]
	v_fma_f32 v2, v27, v62, -v2
	v_fma_f32 v18, v11, v64, -v12
	v_mul_f32_e32 v21, v27, v63
	v_mul_f32_e32 v26, v11, v65
	v_add_f32_e32 v12, v2, v18
	v_fmac_f32_e32 v21, v17, v62
	v_fmac_f32_e32 v26, v16, v64
	v_fma_f32 v12, -0.5, v12, v8
	v_add_f32_e32 v11, v21, v26
	v_sub_f32_e32 v17, v2, v18
	v_add_f32_e32 v2, v8, v2
	v_mul_hi_u32 v8, v57, s3
	v_fma_f32 v11, -0.5, v11, v13
	v_mov_b32_e32 v14, v11
	v_sub_f32_e32 v16, v21, v26
	v_mov_b32_e32 v15, v12
	v_fmac_f32_e32 v14, 0x3f5db3d7, v17
	v_fmac_f32_e32 v11, 0xbf5db3d7, v17
	v_add_f32_e32 v17, v2, v18
	v_add_f32_e32 v2, v13, v21
	v_fmac_f32_e32 v15, 0xbf5db3d7, v16
	v_fmac_f32_e32 v12, 0x3f5db3d7, v16
	v_add_f32_e32 v16, v2, v26
	v_lshrrev_b32_e32 v2, 6, v8
	v_mov_b32_e32 v8, s15
	v_mul_u32_u24_e32 v2, 0x120, v2
	v_addc_co_u32_e64 v7, s[0:1], v8, v7, s[0:1]
	v_sub_u32_e32 v2, v57, v2
	v_add_co_u32_e64 v6, s[0:1], v6, v4
	v_addc_co_u32_e64 v7, s[0:1], v7, v5, s[0:1]
	v_lshlrev_b32_e32 v2, 3, v2
	v_add_co_u32_e64 v4, s[0:1], v6, v2
	v_add_u32_e32 v2, 54, v57
	v_addc_co_u32_e64 v5, s[0:1], 0, v7, s[0:1]
	v_mul_hi_u32 v8, v2, s3
	s_movk_i32 s0, 0x1000
	global_store_dwordx2 v[4:5], v[16:17], off
	global_store_dwordx2 v[4:5], v[11:12], off offset:2304
	v_add_co_u32_e64 v4, s[0:1], s0, v4
	v_addc_co_u32_e64 v5, s[0:1], 0, v5, s[0:1]
	global_store_dwordx2 v[4:5], v[14:15], off offset:512
	v_lshrrev_b32_e32 v4, 6, v8
	v_mul_u32_u24_e32 v5, 0x120, v4
	v_sub_u32_e32 v2, v2, v5
	v_mad_u32_u24 v2, v4, s4, v2
	v_lshlrev_b64 v[4:5], 3, v[2:3]
	v_add_f32_e32 v45, v36, v45
	v_add_co_u32_e64 v4, s[0:1], v6, v4
	v_addc_co_u32_e64 v5, s[0:1], v7, v5, s[0:1]
	global_store_dwordx2 v[4:5], v[9:10], off
	v_add_u32_e32 v4, 0x120, v2
	v_mov_b32_e32 v5, v3
	v_lshlrev_b64 v[4:5], 3, v[4:5]
	v_add_u32_e32 v2, 0x240, v2
	v_add_co_u32_e64 v4, s[0:1], v6, v4
	v_addc_co_u32_e64 v5, s[0:1], v7, v5, s[0:1]
	global_store_dwordx2 v[4:5], v[19:20], off
	v_lshlrev_b64 v[4:5], 3, v[2:3]
	v_add_u32_e32 v2, 0x6c, v57
	v_mul_hi_u32 v8, v2, s3
	v_add_co_u32_e64 v4, s[0:1], v6, v4
	v_addc_co_u32_e64 v5, s[0:1], v7, v5, s[0:1]
	global_store_dwordx2 v[4:5], v[28:29], off
	v_lshrrev_b32_e32 v4, 6, v8
	v_mul_u32_u24_e32 v5, 0x120, v4
	v_sub_u32_e32 v2, v2, v5
	v_mad_u32_u24 v2, v4, s4, v2
	v_lshlrev_b64 v[4:5], 3, v[2:3]
	v_add_co_u32_e64 v4, s[0:1], v6, v4
	v_addc_co_u32_e64 v5, s[0:1], v7, v5, s[0:1]
	global_store_dwordx2 v[4:5], v[30:31], off
	v_add_u32_e32 v4, 0x120, v2
	v_mov_b32_e32 v5, v3
	v_lshlrev_b64 v[4:5], 3, v[4:5]
	v_add_u32_e32 v2, 0x240, v2
	v_add_co_u32_e64 v4, s[0:1], v6, v4
	v_addc_co_u32_e64 v5, s[0:1], v7, v5, s[0:1]
	global_store_dwordx2 v[4:5], v[49:50], off
	v_lshlrev_b64 v[4:5], 3, v[2:3]
	v_add_u32_e32 v2, 0xa2, v57
	v_mul_hi_u32 v8, v2, s3
	v_add_co_u32_e64 v4, s[0:1], v6, v4
	v_addc_co_u32_e64 v5, s[0:1], v7, v5, s[0:1]
	global_store_dwordx2 v[4:5], v[22:23], off
	v_lshrrev_b32_e32 v4, 6, v8
	v_mul_u32_u24_e32 v5, 0x120, v4
	v_sub_u32_e32 v2, v2, v5
	v_mad_u32_u24 v2, v4, s4, v2
	v_lshlrev_b64 v[4:5], 3, v[2:3]
	v_add_co_u32_e64 v4, s[0:1], v6, v4
	v_addc_co_u32_e64 v5, s[0:1], v7, v5, s[0:1]
	global_store_dwordx2 v[4:5], v[45:46], off
	v_add_u32_e32 v4, 0x120, v2
	v_mov_b32_e32 v5, v3
	v_lshlrev_b64 v[4:5], 3, v[4:5]
	v_add_u32_e32 v2, 0x240, v2
	v_add_co_u32_e64 v4, s[0:1], v6, v4
	v_addc_co_u32_e64 v5, s[0:1], v7, v5, s[0:1]
	global_store_dwordx2 v[4:5], v[43:44], off
	v_lshlrev_b64 v[4:5], 3, v[2:3]
	v_add_u32_e32 v2, 0xd8, v57
	v_mul_hi_u32 v8, v2, s3
	v_add_co_u32_e64 v4, s[0:1], v6, v4
	v_addc_co_u32_e64 v5, s[0:1], v7, v5, s[0:1]
	global_store_dwordx2 v[4:5], v[47:48], off
	v_lshrrev_b32_e32 v4, 6, v8
	v_mul_u32_u24_e32 v5, 0x120, v4
	v_sub_u32_e32 v2, v2, v5
	v_mad_u32_u24 v2, v4, s4, v2
	v_lshlrev_b64 v[4:5], 3, v[2:3]
	v_add_co_u32_e64 v4, s[0:1], v6, v4
	v_addc_co_u32_e64 v5, s[0:1], v7, v5, s[0:1]
	global_store_dwordx2 v[4:5], v[34:35], off
	v_add_u32_e32 v4, 0x120, v2
	v_mov_b32_e32 v5, v3
	v_lshlrev_b64 v[4:5], 3, v[4:5]
	v_add_u32_e32 v2, 0x240, v2
	v_add_co_u32_e64 v4, s[0:1], v6, v4
	v_addc_co_u32_e64 v5, s[0:1], v7, v5, s[0:1]
	global_store_dwordx2 v[4:5], v[24:25], off
	v_lshlrev_b64 v[4:5], 3, v[2:3]
	v_add_co_u32_e64 v4, s[0:1], v6, v4
	v_addc_co_u32_e64 v5, s[0:1], v7, v5, s[0:1]
	global_store_dwordx2 v[4:5], v[39:40], off
	v_add_u32_e32 v4, 0x10e, v57
	v_cmp_gt_u32_e64 s[0:1], s2, v4
	s_and_b64 exec, exec, s[0:1]
	s_cbranch_execz .LBB0_34
; %bb.33:
	v_not_b32_e32 v2, 17
	v_mov_b32_e32 v5, 0x10e
	v_cndmask_b32_e32 v2, v2, v5, vcc
	v_add_lshl_u32 v2, v57, v2, 1
	v_lshlrev_b64 v[8:9], 3, v[2:3]
	v_mov_b32_e32 v2, s9
	v_add_co_u32_e32 v8, vcc, s8, v8
	v_addc_co_u32_e32 v9, vcc, v2, v9, vcc
	global_load_dwordx4 v[8:11], v[8:9], off offset:2280
	v_mov_b32_e32 v5, v3
	v_lshlrev_b64 v[4:5], 3, v[4:5]
	v_add_u32_e32 v2, 0x22e, v57
	v_add_co_u32_e32 v4, vcc, v6, v4
	v_lshlrev_b64 v[12:13], 3, v[2:3]
	v_addc_co_u32_e32 v5, vcc, v7, v5, vcc
	v_add_u32_e32 v2, 0x34e, v57
	v_lshlrev_b64 v[2:3], 3, v[2:3]
	v_add_co_u32_e32 v12, vcc, v6, v12
	v_addc_co_u32_e32 v13, vcc, v7, v13, vcc
	v_add_co_u32_e32 v2, vcc, v6, v2
	v_addc_co_u32_e32 v3, vcc, v7, v3, vcc
	s_waitcnt vmcnt(0)
	v_mul_f32_e32 v6, v41, v9
	v_mul_f32_e32 v7, v37, v9
	;; [unrolled: 1-line block ×4, first 2 shown]
	v_fmac_f32_e32 v6, v37, v8
	v_fma_f32 v7, v41, v8, -v7
	v_fmac_f32_e32 v9, v38, v10
	v_fma_f32 v8, v42, v10, -v11
	v_add_f32_e32 v11, v6, v9
	v_add_f32_e32 v16, v7, v8
	;; [unrolled: 1-line block ×4, first 2 shown]
	v_fmac_f32_e32 v0, -0.5, v11
	v_fmac_f32_e32 v1, -0.5, v16
	v_sub_f32_e32 v14, v7, v8
	v_sub_f32_e32 v17, v6, v9
	v_add_f32_e32 v6, v10, v9
	v_add_f32_e32 v7, v15, v8
	v_mov_b32_e32 v8, v0
	v_mov_b32_e32 v9, v1
	v_fmac_f32_e32 v8, 0xbf5db3d7, v14
	v_fmac_f32_e32 v9, 0x3f5db3d7, v17
	;; [unrolled: 1-line block ×4, first 2 shown]
	global_store_dwordx2 v[4:5], v[6:7], off
	global_store_dwordx2 v[12:13], v[8:9], off
	;; [unrolled: 1-line block ×3, first 2 shown]
.LBB0_34:
	s_endpgm
	.section	.rodata,"a",@progbits
	.p2align	6, 0x0
	.amdhsa_kernel fft_rtc_back_len864_factors_3_6_16_3_wgs_54_tpt_54_halfLds_sp_op_CI_CI_unitstride_sbrr_dirReg
		.amdhsa_group_segment_fixed_size 0
		.amdhsa_private_segment_fixed_size 0
		.amdhsa_kernarg_size 104
		.amdhsa_user_sgpr_count 6
		.amdhsa_user_sgpr_private_segment_buffer 1
		.amdhsa_user_sgpr_dispatch_ptr 0
		.amdhsa_user_sgpr_queue_ptr 0
		.amdhsa_user_sgpr_kernarg_segment_ptr 1
		.amdhsa_user_sgpr_dispatch_id 0
		.amdhsa_user_sgpr_flat_scratch_init 0
		.amdhsa_user_sgpr_private_segment_size 0
		.amdhsa_uses_dynamic_stack 0
		.amdhsa_system_sgpr_private_segment_wavefront_offset 0
		.amdhsa_system_sgpr_workgroup_id_x 1
		.amdhsa_system_sgpr_workgroup_id_y 0
		.amdhsa_system_sgpr_workgroup_id_z 0
		.amdhsa_system_sgpr_workgroup_info 0
		.amdhsa_system_vgpr_workitem_id 0
		.amdhsa_next_free_vgpr 87
		.amdhsa_next_free_sgpr 28
		.amdhsa_reserve_vcc 1
		.amdhsa_reserve_flat_scratch 0
		.amdhsa_float_round_mode_32 0
		.amdhsa_float_round_mode_16_64 0
		.amdhsa_float_denorm_mode_32 3
		.amdhsa_float_denorm_mode_16_64 3
		.amdhsa_dx10_clamp 1
		.amdhsa_ieee_mode 1
		.amdhsa_fp16_overflow 0
		.amdhsa_exception_fp_ieee_invalid_op 0
		.amdhsa_exception_fp_denorm_src 0
		.amdhsa_exception_fp_ieee_div_zero 0
		.amdhsa_exception_fp_ieee_overflow 0
		.amdhsa_exception_fp_ieee_underflow 0
		.amdhsa_exception_fp_ieee_inexact 0
		.amdhsa_exception_int_div_zero 0
	.end_amdhsa_kernel
	.text
.Lfunc_end0:
	.size	fft_rtc_back_len864_factors_3_6_16_3_wgs_54_tpt_54_halfLds_sp_op_CI_CI_unitstride_sbrr_dirReg, .Lfunc_end0-fft_rtc_back_len864_factors_3_6_16_3_wgs_54_tpt_54_halfLds_sp_op_CI_CI_unitstride_sbrr_dirReg
                                        ; -- End function
	.section	.AMDGPU.csdata,"",@progbits
; Kernel info:
; codeLenInByte = 8304
; NumSgprs: 32
; NumVgprs: 87
; ScratchSize: 0
; MemoryBound: 0
; FloatMode: 240
; IeeeMode: 1
; LDSByteSize: 0 bytes/workgroup (compile time only)
; SGPRBlocks: 3
; VGPRBlocks: 21
; NumSGPRsForWavesPerEU: 32
; NumVGPRsForWavesPerEU: 87
; Occupancy: 2
; WaveLimiterHint : 1
; COMPUTE_PGM_RSRC2:SCRATCH_EN: 0
; COMPUTE_PGM_RSRC2:USER_SGPR: 6
; COMPUTE_PGM_RSRC2:TRAP_HANDLER: 0
; COMPUTE_PGM_RSRC2:TGID_X_EN: 1
; COMPUTE_PGM_RSRC2:TGID_Y_EN: 0
; COMPUTE_PGM_RSRC2:TGID_Z_EN: 0
; COMPUTE_PGM_RSRC2:TIDIG_COMP_CNT: 0
	.type	__hip_cuid_9206562e749b78f8,@object ; @__hip_cuid_9206562e749b78f8
	.section	.bss,"aw",@nobits
	.globl	__hip_cuid_9206562e749b78f8
__hip_cuid_9206562e749b78f8:
	.byte	0                               ; 0x0
	.size	__hip_cuid_9206562e749b78f8, 1

	.ident	"AMD clang version 19.0.0git (https://github.com/RadeonOpenCompute/llvm-project roc-6.4.0 25133 c7fe45cf4b819c5991fe208aaa96edf142730f1d)"
	.section	".note.GNU-stack","",@progbits
	.addrsig
	.addrsig_sym __hip_cuid_9206562e749b78f8
	.amdgpu_metadata
---
amdhsa.kernels:
  - .args:
      - .actual_access:  read_only
        .address_space:  global
        .offset:         0
        .size:           8
        .value_kind:     global_buffer
      - .offset:         8
        .size:           8
        .value_kind:     by_value
      - .actual_access:  read_only
        .address_space:  global
        .offset:         16
        .size:           8
        .value_kind:     global_buffer
      - .actual_access:  read_only
        .address_space:  global
        .offset:         24
        .size:           8
        .value_kind:     global_buffer
      - .actual_access:  read_only
        .address_space:  global
        .offset:         32
        .size:           8
        .value_kind:     global_buffer
      - .offset:         40
        .size:           8
        .value_kind:     by_value
      - .actual_access:  read_only
        .address_space:  global
        .offset:         48
        .size:           8
        .value_kind:     global_buffer
      - .actual_access:  read_only
        .address_space:  global
        .offset:         56
        .size:           8
        .value_kind:     global_buffer
      - .offset:         64
        .size:           4
        .value_kind:     by_value
      - .actual_access:  read_only
        .address_space:  global
        .offset:         72
        .size:           8
        .value_kind:     global_buffer
      - .actual_access:  read_only
        .address_space:  global
        .offset:         80
        .size:           8
        .value_kind:     global_buffer
      - .actual_access:  read_only
        .address_space:  global
        .offset:         88
        .size:           8
        .value_kind:     global_buffer
      - .actual_access:  write_only
        .address_space:  global
        .offset:         96
        .size:           8
        .value_kind:     global_buffer
    .group_segment_fixed_size: 0
    .kernarg_segment_align: 8
    .kernarg_segment_size: 104
    .language:       OpenCL C
    .language_version:
      - 2
      - 0
    .max_flat_workgroup_size: 54
    .name:           fft_rtc_back_len864_factors_3_6_16_3_wgs_54_tpt_54_halfLds_sp_op_CI_CI_unitstride_sbrr_dirReg
    .private_segment_fixed_size: 0
    .sgpr_count:     32
    .sgpr_spill_count: 0
    .symbol:         fft_rtc_back_len864_factors_3_6_16_3_wgs_54_tpt_54_halfLds_sp_op_CI_CI_unitstride_sbrr_dirReg.kd
    .uniform_work_group_size: 1
    .uses_dynamic_stack: false
    .vgpr_count:     87
    .vgpr_spill_count: 0
    .wavefront_size: 64
amdhsa.target:   amdgcn-amd-amdhsa--gfx906
amdhsa.version:
  - 1
  - 2
...

	.end_amdgpu_metadata
